;; amdgpu-corpus repo=ROCm/rocm-examples kind=compiled arch=gfx1201 opt=O3
	.amdgcn_target "amdgcn-amd-amdhsa--gfx1201"
	.amdhsa_code_object_version 6
	.section	.text._Z11convolutionILm5EEvPKfPf15HIP_vector_typeIjLj2EE,"axG",@progbits,_Z11convolutionILm5EEvPKfPf15HIP_vector_typeIjLj2EE,comdat
	.protected	_Z11convolutionILm5EEvPKfPf15HIP_vector_typeIjLj2EE ; -- Begin function _Z11convolutionILm5EEvPKfPf15HIP_vector_typeIjLj2EE
	.globl	_Z11convolutionILm5EEvPKfPf15HIP_vector_typeIjLj2EE
	.p2align	8
	.type	_Z11convolutionILm5EEvPKfPf15HIP_vector_typeIjLj2EE,@function
_Z11convolutionILm5EEvPKfPf15HIP_vector_typeIjLj2EE: ; @_Z11convolutionILm5EEvPKfPf15HIP_vector_typeIjLj2EE
; %bb.0:
	s_clause 0x1
	s_load_b32 s2, s[0:1], 0x24
	s_load_b64 s[20:21], s[0:1], 0x10
	v_and_b32_e32 v1, 0x3ff, v0
	v_bfe_u32 v0, v0, 10, 10
	s_wait_kmcnt 0x0
	s_lshr_b32 s3, s2, 16
	s_and_b32 s2, s2, 0xffff
	s_delay_alu instid0(SALU_CYCLE_1) | instskip(SKIP_1) | instid1(VALU_DEP_2)
	v_mad_co_u64_u32 v[2:3], null, ttmp9, s2, v[1:2]
	v_mad_co_u64_u32 v[0:1], null, ttmp7, s3, v[0:1]
	v_cmp_gt_u32_e32 vcc_lo, s20, v2
	s_delay_alu instid0(VALU_DEP_2)
	v_cmp_gt_u32_e64 s2, s21, v0
	s_and_b32 s2, vcc_lo, s2
	s_wait_alu 0xfffe
	s_and_saveexec_b32 s3, s2
	s_cbranch_execz .LBB0_2
; %bb.1:
	s_mov_b32 s21, 0
	s_load_b128 s[16:19], s[0:1], 0x0
	s_add_nc_u64 s[2:3], s[20:21], 4
	v_mov_b32_e32 v3, 0
	s_wait_alu 0xfffe
	v_mad_co_u64_u32 v[4:5], null, s2, v0, 0
	s_lshl_b64 s[0:1], s[20:21], 2
	v_lshlrev_b64_e32 v[21:22], 2, v[2:3]
	v_mov_b32_e32 v1, v5
	s_delay_alu instid0(VALU_DEP_1) | instskip(NEXT) | instid1(VALU_DEP_1)
	v_mad_co_u64_u32 v[5:6], null, s3, v0, v[1:2]
	v_lshlrev_b64_e32 v[4:5], 2, v[4:5]
	s_wait_kmcnt 0x0
	s_delay_alu instid0(VALU_DEP_1) | instskip(NEXT) | instid1(VALU_DEP_1)
	v_add_co_u32 v1, vcc_lo, s16, v4
	v_add_co_ci_u32_e64 v2, null, s17, v5, vcc_lo
	s_delay_alu instid0(VALU_DEP_2) | instskip(SKIP_1) | instid1(VALU_DEP_2)
	v_add_co_u32 v9, vcc_lo, v1, v21
	s_wait_alu 0xfffd
	v_add_co_ci_u32_e64 v10, null, v2, v22, vcc_lo
	s_clause 0x1
	global_load_b128 v[1:4], v[9:10], off
	global_load_b32 v25, v[9:10], off offset:16
	s_wait_alu 0xfffe
	v_add_co_u32 v11, vcc_lo, v9, s0
	s_wait_alu 0xfffd
	v_add_co_ci_u32_e64 v12, null, s1, v10, vcc_lo
	s_clause 0x1
	global_load_b128 v[5:8], v[11:12], off offset:16
	global_load_b32 v26, v[11:12], off offset:32
	s_lshl_b64 s[0:1], s[2:3], 3
	s_wait_alu 0xfffe
	v_add_co_u32 v13, vcc_lo, v9, s0
	s_wait_alu 0xfffd
	v_add_co_ci_u32_e64 v14, null, s1, v10, vcc_lo
	s_clause 0x1
	global_load_b128 v[9:12], v[13:14], off
	global_load_b32 v27, v[13:14], off offset:16
	s_lshl_b64 s[0:1], s[2:3], 2
	s_wait_alu 0xfffe
	v_add_co_u32 v17, vcc_lo, v13, s0
	s_wait_alu 0xfffd
	v_add_co_ci_u32_e64 v18, null, s1, v14, vcc_lo
	s_clause 0x1
	global_load_b128 v[13:16], v[17:18], off
	global_load_b32 v28, v[17:18], off offset:16
	v_add_co_u32 v23, vcc_lo, v17, s0
	s_wait_alu 0xfffd
	v_add_co_ci_u32_e64 v24, null, s1, v18, vcc_lo
	s_clause 0x1
	global_load_b128 v[17:20], v[23:24], off
	global_load_b32 v23, v[23:24], off offset:16
	s_getpc_b64 s[0:1]
	s_wait_alu 0xfffe
	s_sext_i32_i16 s1, s1
	s_add_co_u32 s0, s0, d_mask@rel32@lo+12
	s_wait_alu 0xfffe
	s_add_co_ci_u32 s1, s1, d_mask@rel32@hi+24
	s_load_b512 s[0:15], s[0:1], 0x0
	s_wait_loadcnt 0x9
	s_wait_kmcnt 0x0
	v_fma_f32 v24, v1, s0, 0
	v_mad_co_u64_u32 v[0:1], null, v0, s20, 0
	s_delay_alu instid0(VALU_DEP_2) | instskip(NEXT) | instid1(VALU_DEP_2)
	v_fmac_f32_e32 v24, s1, v2
	v_lshlrev_b64_e32 v[0:1], 2, v[0:1]
	s_delay_alu instid0(VALU_DEP_2) | instskip(NEXT) | instid1(VALU_DEP_2)
	v_fmac_f32_e32 v24, s2, v3
	v_add_co_u32 v0, vcc_lo, s18, v0
	s_delay_alu instid0(VALU_DEP_2) | instskip(SKIP_1) | instid1(VALU_DEP_4)
	v_fmac_f32_e32 v24, s3, v4
	s_wait_alu 0xfffd
	v_add_co_ci_u32_e64 v1, null, s19, v1, vcc_lo
	s_delay_alu instid0(VALU_DEP_3)
	v_add_co_u32 v0, vcc_lo, v0, v21
	s_wait_loadcnt 0x8
	v_fmac_f32_e32 v24, s4, v25
	s_wait_alu 0xfffd
	v_add_co_ci_u32_e64 v1, null, v1, v22, vcc_lo
	s_wait_loadcnt 0x7
	s_delay_alu instid0(VALU_DEP_2) | instskip(NEXT) | instid1(VALU_DEP_1)
	v_fmac_f32_e32 v24, s5, v5
	v_fmac_f32_e32 v24, s6, v6
	s_delay_alu instid0(VALU_DEP_1) | instskip(NEXT) | instid1(VALU_DEP_1)
	v_fmac_f32_e32 v24, s7, v7
	v_fmac_f32_e32 v24, s8, v8
	s_wait_loadcnt 0x6
	s_delay_alu instid0(VALU_DEP_1)
	v_fmac_f32_e32 v24, s9, v26
	s_getpc_b64 s[8:9]
	s_wait_alu 0xfffe
	s_sext_i32_i16 s9, s9
	s_add_co_u32 s8, s8, d_mask@rel32@lo+76
	s_wait_alu 0xfffe
	s_add_co_ci_u32 s9, s9, d_mask@rel32@hi+88
	s_load_b256 s[0:7], s[8:9], 0x0
	s_wait_loadcnt 0x5
	v_fmac_f32_e32 v24, s10, v9
	s_delay_alu instid0(VALU_DEP_1) | instskip(NEXT) | instid1(VALU_DEP_1)
	v_fmac_f32_e32 v24, s11, v10
	v_fmac_f32_e32 v24, s12, v11
	s_delay_alu instid0(VALU_DEP_1) | instskip(SKIP_1) | instid1(VALU_DEP_1)
	v_fmac_f32_e32 v24, s13, v12
	s_wait_loadcnt 0x4
	v_fmac_f32_e32 v24, s14, v27
	s_wait_loadcnt 0x3
	s_delay_alu instid0(VALU_DEP_1) | instskip(SKIP_1) | instid1(VALU_DEP_1)
	v_fmac_f32_e32 v24, s15, v13
	s_wait_kmcnt 0x0
	v_fmac_f32_e32 v24, s0, v14
	s_load_b32 s0, s[8:9], 0x20
	s_delay_alu instid0(VALU_DEP_1) | instskip(NEXT) | instid1(VALU_DEP_1)
	v_fmac_f32_e32 v24, s1, v15
	v_fmac_f32_e32 v24, s2, v16
	s_wait_loadcnt 0x2
	s_delay_alu instid0(VALU_DEP_1) | instskip(SKIP_1) | instid1(VALU_DEP_1)
	v_fmac_f32_e32 v24, s3, v28
	s_wait_loadcnt 0x1
	v_fmac_f32_e32 v24, s4, v17
	s_delay_alu instid0(VALU_DEP_1) | instskip(NEXT) | instid1(VALU_DEP_1)
	v_fmac_f32_e32 v24, s5, v18
	v_fmac_f32_e32 v24, s6, v19
	s_delay_alu instid0(VALU_DEP_1) | instskip(SKIP_2) | instid1(VALU_DEP_1)
	v_fmac_f32_e32 v24, s7, v20
	s_wait_loadcnt 0x0
	s_wait_kmcnt 0x0
	v_fmac_f32_e32 v24, s0, v23
	global_store_b32 v[0:1], v24, off
.LBB0_2:
	s_endpgm
	.section	.rodata,"a",@progbits
	.p2align	6, 0x0
	.amdhsa_kernel _Z11convolutionILm5EEvPKfPf15HIP_vector_typeIjLj2EE
		.amdhsa_group_segment_fixed_size 0
		.amdhsa_private_segment_fixed_size 0
		.amdhsa_kernarg_size 280
		.amdhsa_user_sgpr_count 2
		.amdhsa_user_sgpr_dispatch_ptr 0
		.amdhsa_user_sgpr_queue_ptr 0
		.amdhsa_user_sgpr_kernarg_segment_ptr 1
		.amdhsa_user_sgpr_dispatch_id 0
		.amdhsa_user_sgpr_private_segment_size 0
		.amdhsa_wavefront_size32 1
		.amdhsa_uses_dynamic_stack 0
		.amdhsa_enable_private_segment 0
		.amdhsa_system_sgpr_workgroup_id_x 1
		.amdhsa_system_sgpr_workgroup_id_y 1
		.amdhsa_system_sgpr_workgroup_id_z 0
		.amdhsa_system_sgpr_workgroup_info 0
		.amdhsa_system_vgpr_workitem_id 1
		.amdhsa_next_free_vgpr 29
		.amdhsa_next_free_sgpr 22
		.amdhsa_reserve_vcc 1
		.amdhsa_float_round_mode_32 0
		.amdhsa_float_round_mode_16_64 0
		.amdhsa_float_denorm_mode_32 3
		.amdhsa_float_denorm_mode_16_64 3
		.amdhsa_fp16_overflow 0
		.amdhsa_workgroup_processor_mode 1
		.amdhsa_memory_ordered 1
		.amdhsa_forward_progress 1
		.amdhsa_inst_pref_size 7
		.amdhsa_round_robin_scheduling 0
		.amdhsa_exception_fp_ieee_invalid_op 0
		.amdhsa_exception_fp_denorm_src 0
		.amdhsa_exception_fp_ieee_div_zero 0
		.amdhsa_exception_fp_ieee_overflow 0
		.amdhsa_exception_fp_ieee_underflow 0
		.amdhsa_exception_fp_ieee_inexact 0
		.amdhsa_exception_int_div_zero 0
	.end_amdhsa_kernel
	.section	.text._Z11convolutionILm5EEvPKfPf15HIP_vector_typeIjLj2EE,"axG",@progbits,_Z11convolutionILm5EEvPKfPf15HIP_vector_typeIjLj2EE,comdat
.Lfunc_end0:
	.size	_Z11convolutionILm5EEvPKfPf15HIP_vector_typeIjLj2EE, .Lfunc_end0-_Z11convolutionILm5EEvPKfPf15HIP_vector_typeIjLj2EE
                                        ; -- End function
	.set _Z11convolutionILm5EEvPKfPf15HIP_vector_typeIjLj2EE.num_vgpr, 29
	.set _Z11convolutionILm5EEvPKfPf15HIP_vector_typeIjLj2EE.num_agpr, 0
	.set _Z11convolutionILm5EEvPKfPf15HIP_vector_typeIjLj2EE.numbered_sgpr, 22
	.set _Z11convolutionILm5EEvPKfPf15HIP_vector_typeIjLj2EE.num_named_barrier, 0
	.set _Z11convolutionILm5EEvPKfPf15HIP_vector_typeIjLj2EE.private_seg_size, 0
	.set _Z11convolutionILm5EEvPKfPf15HIP_vector_typeIjLj2EE.uses_vcc, 1
	.set _Z11convolutionILm5EEvPKfPf15HIP_vector_typeIjLj2EE.uses_flat_scratch, 0
	.set _Z11convolutionILm5EEvPKfPf15HIP_vector_typeIjLj2EE.has_dyn_sized_stack, 0
	.set _Z11convolutionILm5EEvPKfPf15HIP_vector_typeIjLj2EE.has_recursion, 0
	.set _Z11convolutionILm5EEvPKfPf15HIP_vector_typeIjLj2EE.has_indirect_call, 0
	.section	.AMDGPU.csdata,"",@progbits
; Kernel info:
; codeLenInByte = 820
; TotalNumSgprs: 24
; NumVgprs: 29
; ScratchSize: 0
; MemoryBound: 0
; FloatMode: 240
; IeeeMode: 1
; LDSByteSize: 0 bytes/workgroup (compile time only)
; SGPRBlocks: 0
; VGPRBlocks: 3
; NumSGPRsForWavesPerEU: 24
; NumVGPRsForWavesPerEU: 29
; Occupancy: 16
; WaveLimiterHint : 0
; COMPUTE_PGM_RSRC2:SCRATCH_EN: 0
; COMPUTE_PGM_RSRC2:USER_SGPR: 2
; COMPUTE_PGM_RSRC2:TRAP_HANDLER: 0
; COMPUTE_PGM_RSRC2:TGID_X_EN: 1
; COMPUTE_PGM_RSRC2:TGID_Y_EN: 1
; COMPUTE_PGM_RSRC2:TGID_Z_EN: 0
; COMPUTE_PGM_RSRC2:TIDIG_COMP_CNT: 1
	.section	.AMDGPU.gpr_maximums,"",@progbits
	.set amdgpu.max_num_vgpr, 0
	.set amdgpu.max_num_agpr, 0
	.set amdgpu.max_num_sgpr, 0
	.section	.AMDGPU.csdata,"",@progbits
	.protected	d_mask                  ; @d_mask
	.type	d_mask,@object
	.section	.rodata,"a",@progbits
	.globl	d_mask
	.p2align	4, 0x0
d_mask:
	.zero	100
	.size	d_mask, 100

	.type	__hip_cuid_ec2936fee77451d6,@object ; @__hip_cuid_ec2936fee77451d6
	.section	.bss,"aw",@nobits
	.globl	__hip_cuid_ec2936fee77451d6
__hip_cuid_ec2936fee77451d6:
	.byte	0                               ; 0x0
	.size	__hip_cuid_ec2936fee77451d6, 1

	.ident	"AMD clang version 22.0.0git (https://github.com/RadeonOpenCompute/llvm-project roc-7.2.4 26084 f58b06dce1f9c15707c5f808fd002e18c2accf7e)"
	.section	".note.GNU-stack","",@progbits
	.addrsig
	.addrsig_sym d_mask
	.addrsig_sym __hip_cuid_ec2936fee77451d6
	.amdgpu_metadata
---
amdhsa.kernels:
  - .args:
      - .address_space:  global
        .offset:         0
        .size:           8
        .value_kind:     global_buffer
      - .address_space:  global
        .offset:         8
        .size:           8
        .value_kind:     global_buffer
      - .offset:         16
        .size:           8
        .value_kind:     by_value
      - .offset:         24
        .size:           4
        .value_kind:     hidden_block_count_x
      - .offset:         28
        .size:           4
        .value_kind:     hidden_block_count_y
      - .offset:         32
        .size:           4
        .value_kind:     hidden_block_count_z
      - .offset:         36
        .size:           2
        .value_kind:     hidden_group_size_x
      - .offset:         38
        .size:           2
        .value_kind:     hidden_group_size_y
      - .offset:         40
        .size:           2
        .value_kind:     hidden_group_size_z
      - .offset:         42
        .size:           2
        .value_kind:     hidden_remainder_x
      - .offset:         44
        .size:           2
        .value_kind:     hidden_remainder_y
      - .offset:         46
        .size:           2
        .value_kind:     hidden_remainder_z
      - .offset:         64
        .size:           8
        .value_kind:     hidden_global_offset_x
      - .offset:         72
        .size:           8
        .value_kind:     hidden_global_offset_y
      - .offset:         80
        .size:           8
        .value_kind:     hidden_global_offset_z
      - .offset:         88
        .size:           2
        .value_kind:     hidden_grid_dims
    .group_segment_fixed_size: 0
    .kernarg_segment_align: 8
    .kernarg_segment_size: 280
    .language:       OpenCL C
    .language_version:
      - 2
      - 0
    .max_flat_workgroup_size: 1024
    .name:           _Z11convolutionILm5EEvPKfPf15HIP_vector_typeIjLj2EE
    .private_segment_fixed_size: 0
    .sgpr_count:     24
    .sgpr_spill_count: 0
    .symbol:         _Z11convolutionILm5EEvPKfPf15HIP_vector_typeIjLj2EE.kd
    .uniform_work_group_size: 1
    .uses_dynamic_stack: false
    .vgpr_count:     29
    .vgpr_spill_count: 0
    .wavefront_size: 32
    .workgroup_processor_mode: 1
amdhsa.target:   amdgcn-amd-amdhsa--gfx1201
amdhsa.version:
  - 1
  - 2
...

	.end_amdgpu_metadata
